;; amdgpu-corpus repo=ROCm/rocFFT kind=compiled arch=gfx1030 opt=O3
	.text
	.amdgcn_target "amdgcn-amd-amdhsa--gfx1030"
	.amdhsa_code_object_version 6
	.protected	fft_rtc_fwd_len200_factors_5_8_5_wgs_400_tpt_40_dp_ip_CI_sbcc_twdbase8_2step_dirReg_intrinsicReadWrite ; -- Begin function fft_rtc_fwd_len200_factors_5_8_5_wgs_400_tpt_40_dp_ip_CI_sbcc_twdbase8_2step_dirReg_intrinsicReadWrite
	.globl	fft_rtc_fwd_len200_factors_5_8_5_wgs_400_tpt_40_dp_ip_CI_sbcc_twdbase8_2step_dirReg_intrinsicReadWrite
	.p2align	8
	.type	fft_rtc_fwd_len200_factors_5_8_5_wgs_400_tpt_40_dp_ip_CI_sbcc_twdbase8_2step_dirReg_intrinsicReadWrite,@function
fft_rtc_fwd_len200_factors_5_8_5_wgs_400_tpt_40_dp_ip_CI_sbcc_twdbase8_2step_dirReg_intrinsicReadWrite: ; @fft_rtc_fwd_len200_factors_5_8_5_wgs_400_tpt_40_dp_ip_CI_sbcc_twdbase8_2step_dirReg_intrinsicReadWrite
; %bb.0:
	s_load_dwordx4 s[0:3], s[4:5], 0x18
	s_mov_b64 s[22:23], 0
	s_waitcnt lgkmcnt(0)
	s_load_dwordx2 s[18:19], s[0:1], 0x8
	s_waitcnt lgkmcnt(0)
	s_add_u32 s7, s18, -1
	s_addc_u32 s8, s19, -1
	s_add_u32 s9, 0, 0x99986000
	s_addc_u32 s10, 0, 0x59
	s_mul_hi_u32 s12, s9, -10
	s_add_i32 s10, s10, 0x19999940
	s_sub_i32 s12, s12, s9
	s_mul_i32 s14, s10, -10
	s_mul_i32 s11, s9, -10
	s_add_i32 s12, s12, s14
	s_mul_hi_u32 s13, s9, s11
	s_mul_i32 s16, s9, s12
	s_mul_hi_u32 s14, s9, s12
	s_mul_hi_u32 s15, s10, s11
	s_mul_i32 s11, s10, s11
	s_add_u32 s13, s13, s16
	s_addc_u32 s14, 0, s14
	s_mul_hi_u32 s17, s10, s12
	s_add_u32 s11, s13, s11
	s_mul_i32 s12, s10, s12
	s_addc_u32 s11, s14, s15
	s_addc_u32 s13, s17, 0
	s_add_u32 s11, s11, s12
	v_add_co_u32 v1, s9, s9, s11
	s_addc_u32 s11, 0, s13
	s_cmp_lg_u32 s9, 0
	s_addc_u32 s9, s10, s11
	v_readfirstlane_b32 s10, v1
	s_mul_i32 s12, s7, s9
	s_mul_hi_u32 s11, s7, s9
	s_mul_hi_u32 s13, s8, s9
	s_mul_i32 s9, s8, s9
	s_mul_hi_u32 s14, s7, s10
	s_mul_hi_u32 s15, s8, s10
	s_mul_i32 s10, s8, s10
	s_add_u32 s12, s14, s12
	s_addc_u32 s11, 0, s11
	s_add_u32 s10, s12, s10
	s_addc_u32 s10, s11, s15
	s_addc_u32 s11, s13, 0
	s_add_u32 s9, s10, s9
	s_addc_u32 s10, 0, s11
	s_mul_i32 s12, s9, 10
	s_add_u32 s11, s9, 1
	v_sub_co_u32 v1, s7, s7, s12
	s_mul_hi_u32 s12, s9, 10
	s_addc_u32 s13, s10, 0
	s_mul_i32 s14, s10, 10
	v_sub_co_u32 v2, s15, v1, 10
	s_add_u32 s16, s9, 2
	s_addc_u32 s17, s10, 0
	s_add_i32 s12, s12, s14
	s_cmp_lg_u32 s7, 0
	v_readfirstlane_b32 s7, v2
	s_subb_u32 s8, s8, s12
	s_cmp_lg_u32 s15, 0
	s_subb_u32 s12, s8, 0
	s_cmp_gt_u32 s7, 9
	s_cselect_b32 s7, -1, 0
	s_cmp_eq_u32 s12, 0
	v_readfirstlane_b32 s12, v1
	s_cselect_b32 s7, s7, -1
	s_cmp_lg_u32 s7, 0
	s_cselect_b32 s11, s16, s11
	s_cselect_b32 s13, s17, s13
	s_cmp_gt_u32 s12, 9
	s_cselect_b32 s7, -1, 0
	s_cmp_eq_u32 s8, 0
	s_cselect_b32 s7, s7, -1
	s_cmp_lg_u32 s7, 0
	s_mov_b32 s7, 0
	s_cselect_b32 s8, s11, s9
	s_cselect_b32 s9, s13, s10
	s_add_u32 s20, s8, 1
	s_addc_u32 s21, s9, 0
	v_cmp_lt_u64_e64 s8, s[6:7], s[20:21]
	s_and_b32 vcc_lo, exec_lo, s8
	s_cbranch_vccnz .LBB0_2
; %bb.1:
	v_cvt_f32_u32_e32 v1, s20
	s_sub_i32 s9, 0, s20
	s_mov_b32 s23, s7
	v_rcp_iflag_f32_e32 v1, v1
	v_mul_f32_e32 v1, 0x4f7ffffe, v1
	v_cvt_u32_f32_e32 v1, v1
	v_readfirstlane_b32 s8, v1
	s_mul_i32 s9, s9, s8
	s_mul_hi_u32 s9, s8, s9
	s_add_i32 s8, s8, s9
	s_mul_hi_u32 s8, s6, s8
	s_mul_i32 s9, s8, s20
	s_add_i32 s10, s8, 1
	s_sub_i32 s9, s6, s9
	s_sub_i32 s11, s9, s20
	s_cmp_ge_u32 s9, s20
	s_cselect_b32 s8, s10, s8
	s_cselect_b32 s9, s11, s9
	s_add_i32 s10, s8, 1
	s_cmp_ge_u32 s9, s20
	s_cselect_b32 s22, s10, s8
.LBB0_2:
	s_load_dwordx4 s[8:11], s[2:3], 0x0
	s_clause 0x2
	s_load_dwordx4 s[12:15], s[4:5], 0x8
	s_load_dwordx2 s[16:17], s[4:5], 0x0
	s_load_dwordx2 s[4:5], s[4:5], 0x58
	s_waitcnt lgkmcnt(0)
	s_mul_i32 s9, s22, s21
	s_mul_hi_u32 s24, s22, s20
	s_mul_i32 s25, s22, s20
	s_add_i32 s24, s24, s9
	s_sub_u32 s33, s6, s25
	s_subb_u32 s9, 0, s24
	s_mul_hi_u32 s24, s33, 10
	s_mul_i32 s9, s9, 10
	s_mul_i32 s33, s33, 10
	s_add_i32 s9, s24, s9
	s_mul_i32 s24, s10, s9
	v_cmp_lt_u64_e64 s25, s[14:15], 3
	s_mul_hi_u32 s26, s10, s33
	s_mul_i32 s27, s11, s33
	s_add_i32 s24, s26, s24
	s_mul_i32 s36, s10, s33
	s_add_i32 s37, s24, s27
	s_and_b32 vcc_lo, exec_lo, s25
	s_cbranch_vccnz .LBB0_10
; %bb.3:
	s_add_u32 s24, s2, 16
	s_addc_u32 s25, s3, 0
	s_add_u32 s0, s0, 16
	s_addc_u32 s1, s1, 0
	s_mov_b64 s[26:27], 2
	s_mov_b32 s28, 0
.LBB0_4:                                ; =>This Inner Loop Header: Depth=1
	s_load_dwordx2 s[30:31], s[0:1], 0x0
	s_waitcnt lgkmcnt(0)
	s_or_b64 s[34:35], s[22:23], s[30:31]
	s_mov_b32 s29, s35
                                        ; implicit-def: $sgpr34_sgpr35
	s_cmp_lg_u64 s[28:29], 0
	s_mov_b32 s29, -1
	s_cbranch_scc0 .LBB0_6
; %bb.5:                                ;   in Loop: Header=BB0_4 Depth=1
	v_cvt_f32_u32_e32 v1, s30
	v_cvt_f32_u32_e32 v2, s31
	s_sub_u32 s35, 0, s30
	s_subb_u32 s38, 0, s31
	v_fmac_f32_e32 v1, 0x4f800000, v2
	v_rcp_f32_e32 v1, v1
	v_mul_f32_e32 v1, 0x5f7ffffc, v1
	v_mul_f32_e32 v2, 0x2f800000, v1
	v_trunc_f32_e32 v2, v2
	v_fmac_f32_e32 v1, 0xcf800000, v2
	v_cvt_u32_f32_e32 v2, v2
	v_cvt_u32_f32_e32 v1, v1
	v_readfirstlane_b32 s29, v2
	v_readfirstlane_b32 s34, v1
	s_mul_i32 s39, s35, s29
	s_mul_hi_u32 s41, s35, s34
	s_mul_i32 s40, s38, s34
	s_add_i32 s39, s41, s39
	s_mul_i32 s42, s35, s34
	s_add_i32 s39, s39, s40
	s_mul_hi_u32 s41, s34, s42
	s_mul_hi_u32 s43, s29, s42
	s_mul_i32 s40, s29, s42
	s_mul_hi_u32 s42, s34, s39
	s_mul_i32 s34, s34, s39
	s_mul_hi_u32 s44, s29, s39
	s_add_u32 s34, s41, s34
	s_addc_u32 s41, 0, s42
	s_add_u32 s34, s34, s40
	s_mul_i32 s39, s29, s39
	s_addc_u32 s34, s41, s43
	s_addc_u32 s40, s44, 0
	s_add_u32 s34, s34, s39
	s_addc_u32 s39, 0, s40
	v_add_co_u32 v1, s34, v1, s34
	s_cmp_lg_u32 s34, 0
	s_addc_u32 s29, s29, s39
	v_readfirstlane_b32 s34, v1
	s_mul_i32 s39, s35, s29
	s_mul_hi_u32 s40, s35, s34
	s_mul_i32 s38, s38, s34
	s_add_i32 s39, s40, s39
	s_mul_i32 s35, s35, s34
	s_add_i32 s39, s39, s38
	s_mul_hi_u32 s40, s29, s35
	s_mul_i32 s41, s29, s35
	s_mul_hi_u32 s35, s34, s35
	s_mul_hi_u32 s42, s34, s39
	s_mul_i32 s34, s34, s39
	s_mul_hi_u32 s38, s29, s39
	s_add_u32 s34, s35, s34
	s_addc_u32 s35, 0, s42
	s_add_u32 s34, s34, s41
	s_mul_i32 s39, s29, s39
	s_addc_u32 s34, s35, s40
	s_addc_u32 s35, s38, 0
	s_add_u32 s34, s34, s39
	s_addc_u32 s35, 0, s35
	v_add_co_u32 v1, s34, v1, s34
	s_cmp_lg_u32 s34, 0
	s_addc_u32 s29, s29, s35
	v_readfirstlane_b32 s34, v1
	s_mul_i32 s38, s22, s29
	s_mul_hi_u32 s35, s22, s29
	s_mul_hi_u32 s39, s23, s29
	s_mul_i32 s29, s23, s29
	s_mul_hi_u32 s40, s22, s34
	s_mul_hi_u32 s41, s23, s34
	s_mul_i32 s34, s23, s34
	s_add_u32 s38, s40, s38
	s_addc_u32 s35, 0, s35
	s_add_u32 s34, s38, s34
	s_addc_u32 s34, s35, s41
	s_addc_u32 s35, s39, 0
	s_add_u32 s34, s34, s29
	s_addc_u32 s35, 0, s35
	s_mul_hi_u32 s29, s30, s34
	s_mul_i32 s39, s30, s35
	s_mul_i32 s40, s30, s34
	s_add_i32 s29, s29, s39
	v_sub_co_u32 v1, s39, s22, s40
	s_mul_i32 s38, s31, s34
	s_add_i32 s29, s29, s38
	v_sub_co_u32 v2, s40, v1, s30
	s_sub_i32 s38, s23, s29
	s_cmp_lg_u32 s39, 0
	s_subb_u32 s38, s38, s31
	s_cmp_lg_u32 s40, 0
	v_readfirstlane_b32 s40, v2
	s_subb_u32 s38, s38, 0
	s_cmp_ge_u32 s38, s31
	s_cselect_b32 s41, -1, 0
	s_cmp_ge_u32 s40, s30
	s_cselect_b32 s40, -1, 0
	s_cmp_eq_u32 s38, s31
	s_cselect_b32 s38, s40, s41
	s_add_u32 s40, s34, 1
	s_addc_u32 s41, s35, 0
	s_add_u32 s42, s34, 2
	s_addc_u32 s43, s35, 0
	s_cmp_lg_u32 s38, 0
	s_cselect_b32 s38, s42, s40
	s_cselect_b32 s40, s43, s41
	s_cmp_lg_u32 s39, 0
	v_readfirstlane_b32 s39, v1
	s_subb_u32 s29, s23, s29
	s_cmp_ge_u32 s29, s31
	s_cselect_b32 s41, -1, 0
	s_cmp_ge_u32 s39, s30
	s_cselect_b32 s39, -1, 0
	s_cmp_eq_u32 s29, s31
	s_cselect_b32 s29, s39, s41
	s_cmp_lg_u32 s29, 0
	s_mov_b32 s29, 0
	s_cselect_b32 s35, s40, s35
	s_cselect_b32 s34, s38, s34
.LBB0_6:                                ;   in Loop: Header=BB0_4 Depth=1
	s_andn2_b32 vcc_lo, exec_lo, s29
	s_cbranch_vccnz .LBB0_8
; %bb.7:                                ;   in Loop: Header=BB0_4 Depth=1
	v_cvt_f32_u32_e32 v1, s30
	s_sub_i32 s34, 0, s30
	v_rcp_iflag_f32_e32 v1, v1
	v_mul_f32_e32 v1, 0x4f7ffffe, v1
	v_cvt_u32_f32_e32 v1, v1
	v_readfirstlane_b32 s29, v1
	s_mul_i32 s34, s34, s29
	s_mul_hi_u32 s34, s29, s34
	s_add_i32 s29, s29, s34
	s_mul_hi_u32 s29, s22, s29
	s_mul_i32 s34, s29, s30
	s_add_i32 s35, s29, 1
	s_sub_i32 s34, s22, s34
	s_sub_i32 s38, s34, s30
	s_cmp_ge_u32 s34, s30
	s_cselect_b32 s29, s35, s29
	s_cselect_b32 s34, s38, s34
	s_add_i32 s35, s29, 1
	s_cmp_ge_u32 s34, s30
	s_cselect_b32 s34, s35, s29
	s_mov_b32 s35, s28
.LBB0_8:                                ;   in Loop: Header=BB0_4 Depth=1
	s_load_dwordx2 s[38:39], s[24:25], 0x0
	s_mul_i32 s21, s30, s21
	s_mul_hi_u32 s29, s30, s20
	s_mul_i32 s40, s31, s20
	s_mul_i32 s31, s34, s31
	s_mul_hi_u32 s41, s34, s30
	s_mul_i32 s42, s35, s30
	s_add_i32 s21, s29, s21
	s_add_i32 s29, s41, s31
	s_mul_i32 s43, s34, s30
	s_add_i32 s21, s21, s40
	s_add_i32 s29, s29, s42
	s_sub_u32 s22, s22, s43
	s_subb_u32 s23, s23, s29
	s_mul_i32 s20, s30, s20
	s_waitcnt lgkmcnt(0)
	s_mul_i32 s23, s38, s23
	s_mul_hi_u32 s29, s38, s22
	s_add_i32 s23, s29, s23
	s_mul_i32 s29, s39, s22
	s_mul_i32 s22, s38, s22
	s_add_i32 s23, s23, s29
	s_add_u32 s36, s22, s36
	s_addc_u32 s37, s23, s37
	s_add_u32 s26, s26, 1
	s_addc_u32 s27, s27, 0
	s_add_u32 s24, s24, 8
	v_cmp_ge_u64_e64 s22, s[26:27], s[14:15]
	s_addc_u32 s25, s25, 0
	s_add_u32 s0, s0, 8
	s_addc_u32 s1, s1, 0
	s_and_b32 vcc_lo, exec_lo, s22
	s_cbranch_vccnz .LBB0_11
; %bb.9:                                ;   in Loop: Header=BB0_4 Depth=1
	s_mov_b64 s[22:23], s[34:35]
	s_branch .LBB0_4
.LBB0_10:
	v_mov_b32_e32 v1, s22
	v_mov_b32_e32 v2, s23
	s_branch .LBB0_13
.LBB0_11:
	v_cmp_lt_u64_e64 s0, s[6:7], s[20:21]
	v_mov_b32_e32 v1, 0
	v_mov_b32_e32 v2, 0
	s_and_b32 vcc_lo, exec_lo, s0
	s_cbranch_vccnz .LBB0_13
; %bb.12:
	v_cvt_f32_u32_e32 v1, s20
	s_sub_i32 s0, 0, s20
	v_rcp_iflag_f32_e32 v1, v1
	v_mul_f32_e32 v1, 0x4f7ffffe, v1
	v_cvt_u32_f32_e32 v1, v1
	v_mul_lo_u32 v2, s0, v1
	v_mul_hi_u32 v2, v1, v2
	v_add_nc_u32_e32 v1, v1, v2
	v_mul_hi_u32 v1, s6, v1
	v_mul_lo_u32 v2, v1, s20
	v_add_nc_u32_e32 v3, 1, v1
	v_sub_nc_u32_e32 v2, s6, v2
	v_subrev_nc_u32_e32 v4, s20, v2
	v_cmp_le_u32_e32 vcc_lo, s20, v2
	v_cndmask_b32_e32 v2, v2, v4, vcc_lo
	v_cndmask_b32_e32 v1, v1, v3, vcc_lo
	v_cmp_le_u32_e32 vcc_lo, s20, v2
	v_add_nc_u32_e32 v3, 1, v1
	v_cndmask_b32_e32 v1, v1, v3, vcc_lo
.LBB0_13:
	s_lshl_b64 s[0:1], s[14:15], 3
	v_mul_u32_u24_e32 v2, 0x199a, v0
	s_add_u32 s0, s2, s0
	s_addc_u32 s1, s3, s1
	s_mov_b32 s7, 0x31014000
	s_load_dword s2, s[0:1], 0x0
	v_lshrrev_b32_e32 v37, 16, v2
	s_add_u32 s0, s33, 10
	s_addc_u32 s1, s9, 0
	s_mov_b32 s6, -2
	v_cmp_le_u64_e64 s0, s[0:1], s[18:19]
	v_mul_lo_u16 v2, v37, 10
	v_add_nc_u32_e32 v5, 0x50, v37
	v_add_nc_u32_e32 v6, 0x78, v37
	;; [unrolled: 1-line block ×3, first 2 shown]
	v_mul_lo_u32 v3, s8, v37
	v_sub_nc_u16 v2, v0, v2
	v_mul_lo_u32 v5, s8, v5
	v_mul_lo_u32 v6, s8, v6
	;; [unrolled: 1-line block ×3, first 2 shown]
	s_mov_b32 s3, 0xbfee6f0e
	v_and_b32_e32 v58, 0xffff, v2
	v_add_nc_u32_e32 v2, 0xa0, v37
	s_waitcnt lgkmcnt(0)
	v_mul_lo_u32 v1, s2, v1
	v_add_co_u32 v35, s2, s33, v58
	v_mad_u64_u32 v[33:34], null, s10, v58, 0
	v_add_co_ci_u32_e64 v36, null, s9, 0, s2
	v_mul_lo_u32 v2, s8, v2
	v_add_nc_u32_e32 v1, s36, v1
	v_cmp_gt_u64_e32 vcc_lo, s[18:19], v[35:36]
	v_add_lshl_u32 v5, v33, v5, 4
	v_add_lshl_u32 v6, v33, v6, 4
	v_lshlrev_b32_e32 v36, 4, v1
	v_add_lshl_u32 v4, v33, v4, 4
	v_add_lshl_u32 v1, v33, v2, 4
	s_or_b32 vcc_lo, s0, vcc_lo
	v_add_lshl_u32 v3, v33, v3, 4
	v_cndmask_b32_e32 v2, -1, v5, vcc_lo
	v_readfirstlane_b32 s0, v36
	v_cndmask_b32_e32 v5, -1, v6, vcc_lo
	v_cndmask_b32_e32 v9, -1, v4, vcc_lo
	;; [unrolled: 1-line block ×4, first 2 shown]
	s_clause 0x4
	buffer_load_dwordx4 v[1:4], v2, s[4:7], s0 offen
	buffer_load_dwordx4 v[5:8], v5, s[4:7], s0 offen
	;; [unrolled: 1-line block ×5, first 2 shown]
	s_mov_b32 s0, 0x134454ff
	s_mov_b32 s1, 0x3fee6f0e
	;; [unrolled: 1-line block ×3, first 2 shown]
	s_waitcnt vmcnt(3)
	v_add_f64 v[21:22], v[1:2], v[5:6]
	v_add_f64 v[25:26], v[3:4], v[7:8]
	s_waitcnt vmcnt(1)
	v_add_f64 v[23:24], v[9:10], v[13:14]
	v_add_f64 v[27:28], v[11:12], v[15:16]
	s_waitcnt vmcnt(0)
	v_add_f64 v[29:30], v[17:18], v[9:10]
	v_add_f64 v[31:32], v[11:12], -v[15:16]
	v_add_f64 v[38:39], v[3:4], -v[7:8]
	v_add_f64 v[40:41], v[19:20], v[11:12]
	v_add_f64 v[42:43], v[9:10], -v[13:14]
	v_add_f64 v[44:45], v[13:14], -v[5:6]
	;; [unrolled: 1-line block ×7, first 2 shown]
	v_fma_f64 v[21:22], v[21:22], -0.5, v[17:18]
	v_fma_f64 v[25:26], v[25:26], -0.5, v[19:20]
	;; [unrolled: 1-line block ×3, first 2 shown]
	v_add_f64 v[23:24], v[1:2], -v[5:6]
	v_fma_f64 v[19:20], v[27:28], -0.5, v[19:20]
	v_add_f64 v[27:28], v[9:10], -v[1:2]
	v_add_f64 v[9:10], v[1:2], -v[9:10]
	v_add_f64 v[1:2], v[29:30], v[1:2]
	v_add_f64 v[3:4], v[40:41], v[3:4]
	v_fma_f64 v[29:30], v[31:32], s[0:1], v[21:22]
	v_fma_f64 v[21:22], v[31:32], s[2:3], v[21:22]
	;; [unrolled: 1-line block ×8, first 2 shown]
	s_mov_b32 s0, 0x4755a5e
	s_mov_b32 s1, 0x3fe2cf23
	;; [unrolled: 1-line block ×4, first 2 shown]
	v_add_f64 v[27:28], v[27:28], v[44:45]
	v_add_f64 v[44:45], v[9:10], v[46:47]
	;; [unrolled: 1-line block ×6, first 2 shown]
	v_fma_f64 v[5:6], v[38:39], s[0:1], v[29:30]
	v_fma_f64 v[7:8], v[38:39], s[2:3], v[21:22]
	;; [unrolled: 1-line block ×8, first 2 shown]
	s_mov_b32 s0, 0x372fe950
	s_mov_b32 s1, 0x3fd3c6ef
	v_add_f64 v[1:2], v[1:2], v[13:14]
	v_add_f64 v[3:4], v[3:4], v[15:16]
	v_fma_f64 v[17:18], v[27:28], s[0:1], v[5:6]
	v_fma_f64 v[13:14], v[27:28], s[0:1], v[7:8]
	;; [unrolled: 1-line block ×8, first 2 shown]
	v_mov_b32_e32 v22, v34
	v_mad_u32_u24 v21, 0x320, v37, 0
	v_cmp_gt_u32_e64 s0, 0xfa, v0
	v_lshlrev_b32_e32 v34, 4, v58
                                        ; implicit-def: $vgpr27_vgpr28
                                        ; implicit-def: $vgpr31_vgpr32
	v_mad_u64_u32 v[22:23], null, s11, v58, v[22:23]
	v_lshl_add_u32 v24, v58, 4, v21
	ds_write_b128 v24, v[1:4]
	ds_write_b128 v24, v[17:20] offset:160
	ds_write_b128 v24, v[9:12] offset:320
	;; [unrolled: 1-line block ×4, first 2 shown]
	s_waitcnt lgkmcnt(0)
	s_barrier
	buffer_gl0_inv
                                        ; implicit-def: $vgpr23_vgpr24
	s_and_saveexec_b32 s1, s0
	s_cbranch_execz .LBB0_15
; %bb.14:
	v_mul_i32_i24_e32 v1, 0xfffffd80, v37
	v_add3_u32 v25, v21, v1, v34
	ds_read_b128 v[1:4], v25
	ds_read_b128 v[17:20], v25 offset:4000
	ds_read_b128 v[9:12], v25 offset:8000
	;; [unrolled: 1-line block ×7, first 2 shown]
.LBB0_15:
	s_or_b32 exec_lo, exec_lo, s1
	s_waitcnt lgkmcnt(0)
	s_barrier
	buffer_gl0_inv
	s_and_saveexec_b32 s1, s0
	s_cbranch_execz .LBB0_17
; %bb.16:
	v_mul_lo_u16 v38, v37, 52
	v_mov_b32_e32 v39, 7
	s_mov_b32 s2, 0x667f3bcd
	s_mov_b32 s3, 0x3fe6a09e
	;; [unrolled: 1-line block ×3, first 2 shown]
	v_lshrrev_b16 v60, 8, v38
	s_mov_b32 s6, s2
	v_mul_lo_u16 v38, v60, 5
	v_sub_nc_u16 v61, v37, v38
	v_mul_u32_u24_sdwa v38, v61, v39 dst_sel:DWORD dst_unused:UNUSED_PAD src0_sel:BYTE_0 src1_sel:DWORD
	v_lshlrev_b32_e32 v58, 4, v38
	s_clause 0x2
	global_load_dwordx4 v[38:41], v58, s[16:17]
	global_load_dwordx4 v[42:45], v58, s[16:17] offset:64
	global_load_dwordx4 v[46:49], v58, s[16:17] offset:16
	s_waitcnt vmcnt(2)
	v_mul_f64 v[50:51], v[19:20], v[40:41]
	v_mul_f64 v[40:41], v[17:18], v[40:41]
	s_waitcnt vmcnt(1)
	v_mul_f64 v[52:53], v[31:32], v[44:45]
	v_mul_f64 v[44:45], v[29:30], v[44:45]
	v_fma_f64 v[50:51], v[17:18], v[38:39], -v[50:51]
	v_fma_f64 v[54:55], v[19:20], v[38:39], v[40:41]
	global_load_dwordx4 v[17:20], v58, s[16:17] offset:80
	v_fma_f64 v[52:53], v[29:30], v[42:43], -v[52:53]
	v_fma_f64 v[56:57], v[31:32], v[42:43], v[44:45]
	s_clause 0x2
	global_load_dwordx4 v[29:32], v58, s[16:17] offset:48
	global_load_dwordx4 v[38:41], v58, s[16:17] offset:32
	;; [unrolled: 1-line block ×3, first 2 shown]
	s_waitcnt vmcnt(4)
	v_mul_f64 v[58:59], v[11:12], v[48:49]
	v_mul_f64 v[48:49], v[9:10], v[48:49]
	v_fma_f64 v[9:10], v[9:10], v[46:47], -v[58:59]
	v_fma_f64 v[11:12], v[11:12], v[46:47], v[48:49]
	s_waitcnt vmcnt(3)
	v_mul_f64 v[46:47], v[23:24], v[19:20]
	v_mul_f64 v[19:20], v[21:22], v[19:20]
	s_waitcnt vmcnt(2)
	v_mul_f64 v[48:49], v[13:14], v[31:32]
	s_waitcnt vmcnt(1)
	v_mul_f64 v[58:59], v[7:8], v[40:41]
	v_fma_f64 v[21:22], v[21:22], v[17:18], -v[46:47]
	v_fma_f64 v[17:18], v[23:24], v[17:18], v[19:20]
	s_waitcnt vmcnt(0)
	v_mul_f64 v[19:20], v[27:28], v[44:45]
	v_mul_f64 v[23:24], v[15:16], v[31:32]
	;; [unrolled: 1-line block ×4, first 2 shown]
	v_fma_f64 v[15:16], v[15:16], v[29:30], v[48:49]
	v_fma_f64 v[5:6], v[5:6], v[38:39], -v[58:59]
	v_add_f64 v[21:22], v[9:10], -v[21:22]
	v_add_f64 v[17:18], v[11:12], -v[17:18]
	v_fma_f64 v[19:20], v[25:26], v[42:43], -v[19:20]
	v_fma_f64 v[13:14], v[13:14], v[29:30], -v[23:24]
	v_fma_f64 v[7:8], v[7:8], v[38:39], v[31:32]
	v_fma_f64 v[23:24], v[27:28], v[42:43], v[40:41]
	v_add_f64 v[15:16], v[3:4], -v[15:16]
	v_add_f64 v[25:26], v[54:55], -v[56:57]
	;; [unrolled: 1-line block ×3, first 2 shown]
	v_fma_f64 v[9:10], v[9:10], 2.0, -v[21:22]
	v_fma_f64 v[11:12], v[11:12], 2.0, -v[17:18]
	v_add_f64 v[19:20], v[5:6], -v[19:20]
	v_add_f64 v[13:14], v[1:2], -v[13:14]
	;; [unrolled: 1-line block ×3, first 2 shown]
	v_add_f64 v[29:30], v[15:16], v[21:22]
	v_fma_f64 v[3:4], v[3:4], 2.0, -v[15:16]
	v_fma_f64 v[38:39], v[50:51], 2.0, -v[27:28]
	v_add_f64 v[31:32], v[25:26], v[19:20]
	v_fma_f64 v[5:6], v[5:6], 2.0, -v[19:20]
	v_fma_f64 v[1:2], v[1:2], 2.0, -v[13:14]
	;; [unrolled: 1-line block ×4, first 2 shown]
	v_add_f64 v[21:22], v[27:28], -v[23:24]
	v_add_f64 v[17:18], v[13:14], -v[17:18]
	;; [unrolled: 1-line block ×3, first 2 shown]
	v_fma_f64 v[40:41], v[15:16], 2.0, -v[29:30]
	v_fma_f64 v[25:26], v[25:26], 2.0, -v[31:32]
	v_add_f64 v[5:6], v[38:39], -v[5:6]
	v_add_f64 v[42:43], v[1:2], -v[9:10]
	;; [unrolled: 1-line block ×3, first 2 shown]
	v_fma_f64 v[9:10], v[27:28], 2.0, -v[21:22]
	v_fma_f64 v[44:45], v[13:14], 2.0, -v[17:18]
	v_fma_f64 v[7:8], v[31:32], s[2:3], v[29:30]
	v_fma_f64 v[13:14], v[21:22], s[2:3], v[17:18]
	v_fma_f64 v[46:47], v[3:4], 2.0, -v[23:24]
	v_fma_f64 v[15:16], v[25:26], s[6:7], v[40:41]
	v_fma_f64 v[27:28], v[38:39], 2.0, -v[5:6]
	v_fma_f64 v[48:49], v[1:2], 2.0, -v[42:43]
	;; [unrolled: 1-line block ×3, first 2 shown]
	v_fma_f64 v[38:39], v[9:10], s[6:7], v[44:45]
	v_fma_f64 v[3:4], v[21:22], s[2:3], v[7:8]
	v_add_f64 v[7:8], v[23:24], v[5:6]
	v_add_f64 v[5:6], v[42:43], -v[11:12]
	v_fma_f64 v[1:2], v[31:32], s[6:7], v[13:14]
	v_fma_f64 v[11:12], v[9:10], s[2:3], v[15:16]
	v_add_f64 v[13:14], v[48:49], -v[27:28]
	v_add_f64 v[15:16], v[46:47], -v[19:20]
	v_mov_b32_e32 v19, 40
	v_fma_f64 v[9:10], v[25:26], s[6:7], v[38:39]
	v_fma_f64 v[23:24], v[23:24], 2.0, -v[7:8]
	v_fma_f64 v[21:22], v[42:43], 2.0, -v[5:6]
	v_mul_u32_u24_sdwa v38, v60, v19 dst_sel:DWORD dst_unused:UNUSED_PAD src0_sel:WORD_0 src1_sel:DWORD
	v_fma_f64 v[19:20], v[29:30], 2.0, -v[3:4]
	v_fma_f64 v[17:18], v[17:18], 2.0, -v[1:2]
	v_or_b32_sdwa v38, v38, v61 dst_sel:DWORD dst_unused:UNUSED_PAD src0_sel:DWORD src1_sel:BYTE_0
	v_mul_u32_u24_e32 v38, 0xa0, v38
	v_fma_f64 v[27:28], v[40:41], 2.0, -v[11:12]
	v_fma_f64 v[29:30], v[48:49], 2.0, -v[13:14]
	v_add3_u32 v38, 0, v38, v34
	v_fma_f64 v[31:32], v[46:47], 2.0, -v[15:16]
	v_fma_f64 v[25:26], v[44:45], 2.0, -v[9:10]
	ds_write_b128 v38, v[5:8] offset:4800
	ds_write_b128 v38, v[21:24] offset:1600
	;; [unrolled: 1-line block ×5, first 2 shown]
	ds_write_b128 v38, v[29:32]
	ds_write_b128 v38, v[25:28] offset:800
	ds_write_b128 v38, v[1:4] offset:5600
.LBB0_17:
	s_or_b32 exec_lo, exec_lo, s1
	v_mul_lo_u16 v1, v37, 13
	s_waitcnt lgkmcnt(0)
	s_barrier
	buffer_gl0_inv
	v_mov_b32_e32 v55, 4
	v_lshrrev_b16 v1, 9, v1
	v_mul_u32_u24_e32 v25, 0xa0, v37
	s_mov_b32 s0, 0x134454ff
	s_mov_b32 s1, 0x3fee6f0e
	;; [unrolled: 1-line block ×3, first 2 shown]
	v_mul_lo_u16 v1, v1, 40
	v_add3_u32 v34, 0, v25, v34
	s_mov_b32 s2, s0
	s_mov_b32 s6, 0x4755a5e
	;; [unrolled: 1-line block ×3, first 2 shown]
	v_sub_nc_u16 v1, v37, v1
	s_mov_b32 s11, 0xbfe2cf23
	s_mov_b32 s10, s6
	v_and_b32_e32 v59, 0xff, v1
	v_lshlrev_b32_e32 v13, 6, v59
	v_mul_lo_u32 v17, v35, v59
	v_add_nc_u32_e32 v49, 40, v59
	v_add_nc_u32_e32 v50, 0x50, v59
	s_clause 0x3
	global_load_dwordx4 v[1:4], v13, s[16:17] offset:560
	global_load_dwordx4 v[5:8], v13, s[16:17] offset:576
	;; [unrolled: 1-line block ×4, first 2 shown]
	v_mul_lo_u32 v49, v35, v49
	v_mul_lo_u32 v51, v35, v50
	v_bfe_u32 v18, v17, 8, 8
	v_lshlrev_b32_sdwa v17, v55, v17 dst_sel:DWORD dst_unused:UNUSED_PAD src0_sel:DWORD src1_sel:BYTE_0
	v_lshl_or_b32 v21, v18, 4, 0x1000
	v_lshlrev_b32_sdwa v52, v55, v49 dst_sel:DWORD dst_unused:UNUSED_PAD src0_sel:DWORD src1_sel:BYTE_0
	v_bfe_u32 v49, v49, 8, 8
	s_clause 0x1
	global_load_dwordx4 v[17:20], v17, s[12:13]
	global_load_dwordx4 v[21:24], v21, s[12:13]
	ds_read_b128 v[25:28], v34 offset:6400
	ds_read_b128 v[29:32], v34 offset:12800
	;; [unrolled: 1-line block ×4, first 2 shown]
	v_lshl_or_b32 v53, v49, 4, 0x1000
	s_waitcnt vmcnt(5) lgkmcnt(3)
	v_mul_f64 v[45:46], v[27:28], v[3:4]
	v_mul_f64 v[3:4], v[25:26], v[3:4]
	s_waitcnt vmcnt(4) lgkmcnt(2)
	v_mul_f64 v[47:48], v[31:32], v[7:8]
	v_mul_f64 v[7:8], v[29:30], v[7:8]
	;; [unrolled: 3-line block ×3, first 2 shown]
	v_fma_f64 v[25:26], v[25:26], v[1:2], -v[45:46]
	v_fma_f64 v[27:28], v[27:28], v[1:2], v[3:4]
	v_mul_f64 v[45:46], v[39:40], v[11:12]
	v_mul_f64 v[11:12], v[37:38], v[11:12]
	v_fma_f64 v[29:30], v[29:30], v[5:6], -v[47:48]
	v_fma_f64 v[31:32], v[31:32], v[5:6], v[7:8]
	s_clause 0x1
	global_load_dwordx4 v[1:4], v52, s[12:13]
	global_load_dwordx4 v[5:8], v53, s[12:13]
	v_bfe_u32 v47, v51, 8, 8
	v_lshlrev_b32_sdwa v51, v55, v51 dst_sel:DWORD dst_unused:UNUSED_PAD src0_sel:DWORD src1_sel:BYTE_0
	v_add_nc_u32_e32 v48, 0x78, v59
	v_fma_f64 v[41:42], v[41:42], v[13:14], -v[49:50]
	v_fma_f64 v[43:44], v[43:44], v[13:14], v[15:16]
	v_lshl_or_b32 v47, v47, 4, 0x1000
	v_fma_f64 v[37:38], v[37:38], v[9:10], -v[45:46]
	v_fma_f64 v[39:40], v[39:40], v[9:10], v[11:12]
	s_waitcnt vmcnt(2)
	v_mul_f64 v[45:46], v[19:20], v[23:24]
	v_mul_f64 v[23:24], v[17:18], v[23:24]
	s_clause 0x1
	global_load_dwordx4 v[9:12], v51, s[12:13]
	global_load_dwordx4 v[13:16], v47, s[12:13]
	v_mul_lo_u32 v47, v35, v48
	v_bfe_u32 v48, v47, 8, 8
	v_lshlrev_b32_sdwa v49, v55, v47 dst_sel:DWORD dst_unused:UNUSED_PAD src0_sel:DWORD src1_sel:BYTE_0
	v_lshl_or_b32 v50, v48, 4, 0x1000
	v_fma_f64 v[45:46], v[17:18], v[21:22], -v[45:46]
	v_fma_f64 v[47:48], v[19:20], v[21:22], v[23:24]
	s_clause 0x1
	global_load_dwordx4 v[17:20], v49, s[12:13]
	global_load_dwordx4 v[21:24], v50, s[12:13]
	s_waitcnt vmcnt(4)
	v_mul_f64 v[49:50], v[3:4], v[7:8]
	v_mul_f64 v[7:8], v[1:2], v[7:8]
	s_waitcnt vmcnt(2)
	v_mul_f64 v[51:52], v[11:12], v[15:16]
	v_fma_f64 v[49:50], v[1:2], v[5:6], -v[49:50]
	v_fma_f64 v[53:54], v[3:4], v[5:6], v[7:8]
	v_mul_f64 v[5:6], v[9:10], v[15:16]
	v_add_nc_u32_e32 v1, 0xa0, v59
	v_mul_lo_u32 v56, v35, v1
	ds_read_b128 v[1:4], v34
	v_add_f64 v[34:35], v[27:28], v[43:44]
	v_bfe_u32 v57, v56, 8, 8
	v_lshlrev_b32_sdwa v60, v55, v56 dst_sel:DWORD dst_unused:UNUSED_PAD src0_sel:DWORD src1_sel:BYTE_0
	s_waitcnt vmcnt(0)
	v_mul_f64 v[7:8], v[19:20], v[23:24]
	v_mul_f64 v[15:16], v[17:18], v[23:24]
	v_fma_f64 v[23:24], v[9:10], v[13:14], -v[51:52]
	v_fma_f64 v[9:10], v[11:12], v[13:14], v[5:6]
	v_add_f64 v[5:6], v[29:30], v[37:38]
	v_add_f64 v[11:12], v[25:26], v[41:42]
	;; [unrolled: 1-line block ×3, first 2 shown]
	v_add_f64 v[51:52], v[29:30], -v[25:26]
	v_lshl_or_b32 v61, v57, 4, 0x1000
	v_fma_f64 v[17:18], v[17:18], v[21:22], -v[7:8]
	v_fma_f64 v[15:16], v[19:20], v[21:22], v[15:16]
	s_waitcnt lgkmcnt(0)
	v_add_f64 v[7:8], v[1:2], v[25:26]
	v_add_f64 v[19:20], v[25:26], -v[29:30]
	v_add_f64 v[21:22], v[41:42], -v[37:38]
	v_fma_f64 v[5:6], v[5:6], -0.5, v[1:2]
	v_fma_f64 v[1:2], v[11:12], -0.5, v[1:2]
	;; [unrolled: 1-line block ×4, first 2 shown]
	v_add_f64 v[34:35], v[37:38], -v[41:42]
	v_add_f64 v[3:4], v[3:4], v[27:28]
	v_add_f64 v[25:26], v[25:26], -v[41:42]
	v_add_f64 v[7:8], v[7:8], v[29:30]
	;; [unrolled: 2-line block ×5, first 2 shown]
	v_fma_f64 v[55:56], v[25:26], s[2:3], v[11:12]
	v_fma_f64 v[11:12], v[25:26], s[0:1], v[11:12]
	v_add_f64 v[7:8], v[7:8], v[37:38]
	v_add_f64 v[37:38], v[39:40], -v[43:44]
	v_add_f64 v[21:22], v[21:22], v[51:52]
	v_add_f64 v[51:52], v[31:32], -v[27:28]
	v_add_f64 v[27:28], v[27:28], -v[43:44]
	;; [unrolled: 1-line block ×3, first 2 shown]
	v_add_f64 v[3:4], v[3:4], v[39:40]
	v_fma_f64 v[11:12], v[29:30], s[6:7], v[11:12]
	v_add_f64 v[41:42], v[7:8], v[41:42]
	v_fma_f64 v[7:8], v[29:30], s[0:1], v[13:14]
	v_fma_f64 v[13:14], v[29:30], s[2:3], v[13:14]
	v_add_f64 v[37:38], v[51:52], v[37:38]
	v_fma_f64 v[51:52], v[27:28], s[0:1], v[5:6]
	v_fma_f64 v[5:6], v[27:28], s[2:3], v[5:6]
	;; [unrolled: 1-line block ×4, first 2 shown]
	v_add_f64 v[43:44], v[3:4], v[43:44]
	s_mov_b32 s0, 0x372fe950
	s_mov_b32 s1, 0x3fd3c6ef
	v_fma_f64 v[57:58], v[25:26], s[10:11], v[7:8]
	v_fma_f64 v[13:14], v[25:26], s[6:7], v[13:14]
	;; [unrolled: 1-line block ×7, first 2 shown]
	s_clause 0x1
	global_load_dwordx4 v[1:4], v60, s[12:13]
	global_load_dwordx4 v[5:8], v61, s[12:13]
	s_mov_b32 s7, 0x31014000
	s_mov_b32 s6, -2
	v_fma_f64 v[55:56], v[37:38], s[0:1], v[57:58]
	v_fma_f64 v[37:38], v[37:38], s[0:1], v[13:14]
	;; [unrolled: 1-line block ×8, first 2 shown]
	v_mov_b32_e32 v51, 0xa4
	v_readfirstlane_b32 s0, v36
	v_mul_u32_u24_sdwa v0, v0, v51 dst_sel:DWORD dst_unused:UNUSED_PAD src0_sel:WORD_0 src1_sel:DWORD
	v_mul_f64 v[31:32], v[55:56], v[9:10]
	v_lshrrev_b32_e32 v0, 16, v0
	v_mul_lo_u16 v57, 0xc8, v0
	v_mul_f64 v[11:12], v[25:26], v[53:54]
	v_mul_f64 v[34:35], v[39:40], v[9:10]
	s_waitcnt vmcnt(0)
	v_mul_f64 v[29:30], v[1:2], v[7:8]
	v_mul_f64 v[7:8], v[3:4], v[7:8]
	v_fma_f64 v[3:4], v[3:4], v[5:6], v[29:30]
	v_fma_f64 v[29:30], v[1:2], v[5:6], -v[7:8]
	v_mul_f64 v[0:1], v[43:44], v[47:48]
	v_mul_f64 v[5:6], v[41:42], v[47:48]
	v_mul_f64 v[7:8], v[13:14], v[53:54]
	v_mul_f64 v[47:48], v[37:38], v[15:16]
	v_mul_f64 v[15:16], v[27:28], v[15:16]
	v_add_nc_u32_sdwa v2, v59, v57 dst_sel:DWORD dst_unused:UNUSED_PAD src0_sel:DWORD src1_sel:WORD_0
	v_mul_lo_u32 v57, s8, v2
	v_add_nc_u32_e32 v58, 40, v2
	v_add_nc_u32_e32 v59, 0x50, v2
	;; [unrolled: 1-line block ×4, first 2 shown]
	v_mul_f64 v[51:52], v[21:22], v[3:4]
	v_mul_f64 v[53:54], v[19:20], v[3:4]
	v_fma_f64 v[0:1], v[41:42], v[45:46], -v[0:1]
	v_fma_f64 v[2:3], v[43:44], v[45:46], v[5:6]
	v_fma_f64 v[4:5], v[25:26], v[49:50], -v[7:8]
	v_fma_f64 v[6:7], v[13:14], v[49:50], v[11:12]
	;; [unrolled: 2-line block ×4, first 2 shown]
	v_mul_lo_u32 v23, s8, v61
	v_add_lshl_u32 v24, v33, v57, 4
	v_cndmask_b32_e32 v24, -1, v24, vcc_lo
	v_add_lshl_u32 v23, v33, v23, 4
	v_fma_f64 v[16:17], v[19:20], v[29:30], -v[51:52]
	v_fma_f64 v[18:19], v[21:22], v[29:30], v[53:54]
	v_mul_lo_u32 v20, s8, v58
	v_mul_lo_u32 v21, s8, v59
	;; [unrolled: 1-line block ×3, first 2 shown]
	v_cndmask_b32_e32 v23, -1, v23, vcc_lo
	v_add_lshl_u32 v20, v33, v20, 4
	v_add_lshl_u32 v21, v33, v21, 4
	;; [unrolled: 1-line block ×3, first 2 shown]
	v_cndmask_b32_e32 v20, -1, v20, vcc_lo
	v_cndmask_b32_e32 v21, -1, v21, vcc_lo
	;; [unrolled: 1-line block ×3, first 2 shown]
	buffer_store_dwordx4 v[0:3], v24, s[4:7], s0 offen
	buffer_store_dwordx4 v[4:7], v20, s[4:7], s0 offen
	;; [unrolled: 1-line block ×5, first 2 shown]
	s_endpgm
	.section	.rodata,"a",@progbits
	.p2align	6, 0x0
	.amdhsa_kernel fft_rtc_fwd_len200_factors_5_8_5_wgs_400_tpt_40_dp_ip_CI_sbcc_twdbase8_2step_dirReg_intrinsicReadWrite
		.amdhsa_group_segment_fixed_size 0
		.amdhsa_private_segment_fixed_size 0
		.amdhsa_kernarg_size 96
		.amdhsa_user_sgpr_count 6
		.amdhsa_user_sgpr_private_segment_buffer 1
		.amdhsa_user_sgpr_dispatch_ptr 0
		.amdhsa_user_sgpr_queue_ptr 0
		.amdhsa_user_sgpr_kernarg_segment_ptr 1
		.amdhsa_user_sgpr_dispatch_id 0
		.amdhsa_user_sgpr_flat_scratch_init 0
		.amdhsa_user_sgpr_private_segment_size 0
		.amdhsa_wavefront_size32 1
		.amdhsa_uses_dynamic_stack 0
		.amdhsa_system_sgpr_private_segment_wavefront_offset 0
		.amdhsa_system_sgpr_workgroup_id_x 1
		.amdhsa_system_sgpr_workgroup_id_y 0
		.amdhsa_system_sgpr_workgroup_id_z 0
		.amdhsa_system_sgpr_workgroup_info 0
		.amdhsa_system_vgpr_workitem_id 0
		.amdhsa_next_free_vgpr 62
		.amdhsa_next_free_sgpr 45
		.amdhsa_reserve_vcc 1
		.amdhsa_reserve_flat_scratch 0
		.amdhsa_float_round_mode_32 0
		.amdhsa_float_round_mode_16_64 0
		.amdhsa_float_denorm_mode_32 3
		.amdhsa_float_denorm_mode_16_64 3
		.amdhsa_dx10_clamp 1
		.amdhsa_ieee_mode 1
		.amdhsa_fp16_overflow 0
		.amdhsa_workgroup_processor_mode 1
		.amdhsa_memory_ordered 1
		.amdhsa_forward_progress 0
		.amdhsa_shared_vgpr_count 0
		.amdhsa_exception_fp_ieee_invalid_op 0
		.amdhsa_exception_fp_denorm_src 0
		.amdhsa_exception_fp_ieee_div_zero 0
		.amdhsa_exception_fp_ieee_overflow 0
		.amdhsa_exception_fp_ieee_underflow 0
		.amdhsa_exception_fp_ieee_inexact 0
		.amdhsa_exception_int_div_zero 0
	.end_amdhsa_kernel
	.text
.Lfunc_end0:
	.size	fft_rtc_fwd_len200_factors_5_8_5_wgs_400_tpt_40_dp_ip_CI_sbcc_twdbase8_2step_dirReg_intrinsicReadWrite, .Lfunc_end0-fft_rtc_fwd_len200_factors_5_8_5_wgs_400_tpt_40_dp_ip_CI_sbcc_twdbase8_2step_dirReg_intrinsicReadWrite
                                        ; -- End function
	.section	.AMDGPU.csdata,"",@progbits
; Kernel info:
; codeLenInByte = 5176
; NumSgprs: 47
; NumVgprs: 62
; ScratchSize: 0
; MemoryBound: 0
; FloatMode: 240
; IeeeMode: 1
; LDSByteSize: 0 bytes/workgroup (compile time only)
; SGPRBlocks: 5
; VGPRBlocks: 7
; NumSGPRsForWavesPerEU: 47
; NumVGPRsForWavesPerEU: 62
; Occupancy: 13
; WaveLimiterHint : 0
; COMPUTE_PGM_RSRC2:SCRATCH_EN: 0
; COMPUTE_PGM_RSRC2:USER_SGPR: 6
; COMPUTE_PGM_RSRC2:TRAP_HANDLER: 0
; COMPUTE_PGM_RSRC2:TGID_X_EN: 1
; COMPUTE_PGM_RSRC2:TGID_Y_EN: 0
; COMPUTE_PGM_RSRC2:TGID_Z_EN: 0
; COMPUTE_PGM_RSRC2:TIDIG_COMP_CNT: 0
	.text
	.p2alignl 6, 3214868480
	.fill 48, 4, 3214868480
	.type	__hip_cuid_b9fd9760047f9b68,@object ; @__hip_cuid_b9fd9760047f9b68
	.section	.bss,"aw",@nobits
	.globl	__hip_cuid_b9fd9760047f9b68
__hip_cuid_b9fd9760047f9b68:
	.byte	0                               ; 0x0
	.size	__hip_cuid_b9fd9760047f9b68, 1

	.ident	"AMD clang version 19.0.0git (https://github.com/RadeonOpenCompute/llvm-project roc-6.4.0 25133 c7fe45cf4b819c5991fe208aaa96edf142730f1d)"
	.section	".note.GNU-stack","",@progbits
	.addrsig
	.addrsig_sym __hip_cuid_b9fd9760047f9b68
	.amdgpu_metadata
---
amdhsa.kernels:
  - .args:
      - .actual_access:  read_only
        .address_space:  global
        .offset:         0
        .size:           8
        .value_kind:     global_buffer
      - .address_space:  global
        .offset:         8
        .size:           8
        .value_kind:     global_buffer
      - .offset:         16
        .size:           8
        .value_kind:     by_value
      - .actual_access:  read_only
        .address_space:  global
        .offset:         24
        .size:           8
        .value_kind:     global_buffer
      - .actual_access:  read_only
        .address_space:  global
        .offset:         32
        .size:           8
        .value_kind:     global_buffer
      - .offset:         40
        .size:           8
        .value_kind:     by_value
      - .actual_access:  read_only
        .address_space:  global
        .offset:         48
        .size:           8
        .value_kind:     global_buffer
      - .actual_access:  read_only
        .address_space:  global
        .offset:         56
        .size:           8
        .value_kind:     global_buffer
      - .offset:         64
        .size:           4
        .value_kind:     by_value
      - .actual_access:  read_only
        .address_space:  global
        .offset:         72
        .size:           8
        .value_kind:     global_buffer
      - .actual_access:  read_only
        .address_space:  global
        .offset:         80
        .size:           8
        .value_kind:     global_buffer
      - .address_space:  global
        .offset:         88
        .size:           8
        .value_kind:     global_buffer
    .group_segment_fixed_size: 0
    .kernarg_segment_align: 8
    .kernarg_segment_size: 96
    .language:       OpenCL C
    .language_version:
      - 2
      - 0
    .max_flat_workgroup_size: 400
    .name:           fft_rtc_fwd_len200_factors_5_8_5_wgs_400_tpt_40_dp_ip_CI_sbcc_twdbase8_2step_dirReg_intrinsicReadWrite
    .private_segment_fixed_size: 0
    .sgpr_count:     47
    .sgpr_spill_count: 0
    .symbol:         fft_rtc_fwd_len200_factors_5_8_5_wgs_400_tpt_40_dp_ip_CI_sbcc_twdbase8_2step_dirReg_intrinsicReadWrite.kd
    .uniform_work_group_size: 1
    .uses_dynamic_stack: false
    .vgpr_count:     62
    .vgpr_spill_count: 0
    .wavefront_size: 32
    .workgroup_processor_mode: 1
amdhsa.target:   amdgcn-amd-amdhsa--gfx1030
amdhsa.version:
  - 1
  - 2
...

	.end_amdgpu_metadata
